;; amdgpu-corpus repo=tuanlda78202/gpt-oss-amd kind=compiled arch=gfx950 opt=O3
	.amdgcn_target "amdgcn-amd-amdhsa--gfx950"
	.amdhsa_code_object_version 6
	.text
	.protected	_Z25gemm_bf16_f32_mfma_routerPK14__hip_bfloat16PKfPfS1_iii ; -- Begin function _Z25gemm_bf16_f32_mfma_routerPK14__hip_bfloat16PKfPfS1_iii
	.globl	_Z25gemm_bf16_f32_mfma_routerPK14__hip_bfloat16PKfPfS1_iii
	.p2align	8
	.type	_Z25gemm_bf16_f32_mfma_routerPK14__hip_bfloat16PKfPfS1_iii,@function
_Z25gemm_bf16_f32_mfma_routerPK14__hip_bfloat16PKfPfS1_iii: ; @_Z25gemm_bf16_f32_mfma_routerPK14__hip_bfloat16PKfPfS1_iii
; %bb.0:
	s_load_dwordx2 s[8:9], s[0:1], 0x18
	s_load_dwordx4 s[16:19], s[0:1], 0x20
	v_lshrrev_b32_e32 v2, 2, v0
	s_lshl_b32 s20, s3, 8
	v_and_b32_e32 v1, 0xf0, v2
	v_or_b32_e32 v8, s20, v1
	v_and_b32_e32 v38, 12, v2
	v_or_b32_e32 v24, v8, v38
	v_mov_b32_e32 v2, 0
	s_waitcnt lgkmcnt(0)
	v_cmp_gt_i32_e64 s[12:13], s16, v24
	v_mov_b32_e32 v3, v2
	v_mov_b32_e32 v4, v2
	;; [unrolled: 1-line block ×3, first 2 shown]
	s_and_saveexec_b64 s[4:5], s[12:13]
	s_cbranch_execz .LBB0_2
; %bb.1:
	v_ashrrev_i32_e32 v25, 31, v24
	v_lshl_add_u64 v[4:5], v[24:25], 1, s[8:9]
	global_load_ushort v3, v[4:5], off
	v_mov_b32_e32 v5, v2
	v_mov_b32_e32 v6, v2
	;; [unrolled: 1-line block ×3, first 2 shown]
	s_waitcnt vmcnt(0)
	v_lshlrev_b32_e32 v4, 16, v3
	v_mov_b64_e32 v[2:3], v[4:5]
	v_mov_b64_e32 v[4:5], v[6:7]
.LBB0_2:
	s_or_b64 exec, exec, s[4:5]
	v_or_b32_e32 v6, 1, v24
	v_cmp_gt_i32_e64 s[10:11], s16, v6
	s_and_saveexec_b64 s[4:5], s[10:11]
	s_cbranch_execz .LBB0_4
; %bb.3:
	v_ashrrev_i32_e32 v25, 31, v24
	v_lshl_add_u64 v[6:7], v[24:25], 1, s[8:9]
	global_load_ushort v3, v[6:7], off offset:2
	s_waitcnt vmcnt(0)
	v_lshlrev_b32_e32 v3, 16, v3
.LBB0_4:
	s_or_b64 exec, exec, s[4:5]
	v_or_b32_e32 v6, 2, v24
	v_cmp_gt_i32_e32 vcc, s16, v6
	s_and_saveexec_b64 s[4:5], vcc
	s_cbranch_execz .LBB0_6
; %bb.5:
	v_ashrrev_i32_e32 v25, 31, v24
	v_lshl_add_u64 v[6:7], v[24:25], 1, s[8:9]
	global_load_ushort v4, v[6:7], off offset:4
	s_waitcnt vmcnt(0)
	v_lshlrev_b32_e32 v4, 16, v4
.LBB0_6:
	s_or_b64 exec, exec, s[4:5]
	v_or_b32_e32 v6, 3, v24
	v_cmp_le_i32_e64 s[4:5], s16, v6
	v_cmp_gt_i32_e64 s[6:7], s16, v6
	s_and_saveexec_b64 s[14:15], s[6:7]
	s_cbranch_execz .LBB0_8
; %bb.7:
	v_ashrrev_i32_e32 v25, 31, v24
	v_lshl_add_u64 v[6:7], v[24:25], 1, s[8:9]
	global_load_ushort v5, v[6:7], off offset:6
	s_waitcnt vmcnt(0)
	v_lshlrev_b32_e32 v5, 16, v5
.LBB0_8:
	s_or_b64 exec, exec, s[14:15]
	s_load_dwordx2 s[14:15], s[0:1], 0x8
	s_lshl_b32 s19, s2, 6
	v_lshrrev_b32_e32 v12, 4, v0
	v_lshlrev_b32_e32 v6, 2, v0
	v_and_b32_e32 v9, 60, v6
	v_or_b32_e32 v10, s19, v12
	v_cmp_gt_i32_e64 s[6:7], s17, v10
	v_cmp_gt_i32_e64 s[2:3], s18, v9
	v_mov_b32_e32 v6, 0
	s_and_b64 s[2:3], s[6:7], s[2:3]
	v_ashrrev_i32_e32 v11, 31, v10
	v_mov_b32_e32 v7, v6
	s_and_saveexec_b64 s[8:9], s[2:3]
	s_xor_b64 s[2:3], exec, s[8:9]
	s_cbranch_execz .LBB0_10
; %bb.9:
	v_mad_u64_u32 v[6:7], s[8:9], s18, v10, 0
	v_mov_b32_e32 v14, v7
	v_mad_u64_u32 v[14:15], s[8:9], s18, v11, v[14:15]
	v_mov_b32_e32 v7, v14
	s_waitcnt lgkmcnt(0)
	v_lshl_add_u64 v[6:7], v[6:7], 2, s[14:15]
	v_lshlrev_b32_e32 v14, 2, v9
	v_mov_b32_e32 v15, 0
	v_lshl_add_u64 v[6:7], v[6:7], 0, v[14:15]
	global_load_dwordx4 v[14:17], v[6:7], off
	s_mov_b32 s8, 0x5040100
	s_waitcnt vmcnt(0)
	v_cvt_pk_bf16_f32 v6, v14, s0
	v_cvt_pk_bf16_f32 v7, v15, v16
	;; [unrolled: 1-line block ×3, first 2 shown]
	v_perm_b32 v6, v7, v6, s8
	v_alignbit_b32 v7, v13, v7, 16
.LBB0_10:
	s_or_b64 exec, exec, s[2:3]
	s_load_dwordx2 s[2:3], s[0:1], 0x10
	v_lshlrev_b32_e32 v13, 1, v9
	s_movk_i32 s21, 0x88
	v_and_b32_e32 v25, 15, v0
	s_mov_b32 s28, 1
	v_mad_u32_u24 v39, v12, s21, v13
	s_cmp_lt_i32 s18, 1
	ds_write_b64 v39, v[6:7]
	s_waitcnt lgkmcnt(0)
	s_barrier
	s_cbranch_scc1 .LBB0_65
; %bb.11:
	s_add_i32 s8, s18, 63
	s_ashr_i32 s9, s8, 31
	s_lshr_b32 s9, s9, 26
	s_add_i32 s8, s8, s9
	s_ashr_i32 s29, s8, 6
	v_or_b32_e32 v6, v8, v25
	v_cmp_gt_i32_e64 s[8:9], s16, v6
	s_max_i32 s22, s29, 1
	v_lshlrev_b32_e32 v6, 1, v38
	v_mad_u32_u24 v40, v25, s21, v6
	s_lshl_b32 s30, s22, 6
	v_mad_u64_u32 v[6:7], s[22:23], v10, s18, 0
	v_mov_b32_e32 v8, v7
	v_mad_u64_u32 v[10:11], s[22:23], v11, s18, v[8:9]
	v_mov_b32_e32 v7, v10
	v_lshlrev_b32_e32 v10, 4, v25
	v_mov_b32_e32 v11, 0
	v_lshl_add_u64 v[6:7], v[6:7], 2, v[10:11]
	v_lshl_add_u64 v[6:7], s[14:15], 0, v[6:7]
	s_mov_b64 s[14:15], 0x100
	v_add3_u32 v1, s20, v1, v25
	s_load_dwordx2 s[0:1], s[0:1], 0x0
	v_lshl_add_u64 v[26:27], v[6:7], 0, s[14:15]
	v_mad_u64_u32 v[6:7], s[20:21], v1, s18, 0
	v_ashrrev_i32_e32 v10, 31, v1
	v_mov_b32_e32 v8, v7
	v_mad_u64_u32 v[12:13], s[20:21], v10, s18, v[8:9]
	v_lshrrev_b32_e32 v0, 1, v0
	v_mov_b32_e32 v7, v12
	v_and_b32_e32 v10, 24, v0
	v_lshl_add_u64 v[0:1], v[6:7], 1, v[10:11]
	s_waitcnt lgkmcnt(0)
	v_lshl_add_u64 v[0:1], s[0:1], 0, v[0:1]
	s_mov_b64 s[0:1], 0x64
	v_or_b32_e32 v41, 64, v9
	v_mov_b64_e32 v[16:17], v[4:5]
	v_mov_b64_e32 v[12:13], v[4:5]
	;; [unrolled: 1-line block ×3, first 2 shown]
	v_lshl_add_u64 v[28:29], v[0:1], 0, s[0:1]
	s_mov_b32 s31, 0
	s_mov_b32 s33, 0x5040100
	;; [unrolled: 1-line block ×3, first 2 shown]
	s_mov_b64 s[20:21], 0x80
	v_mov_b64_e32 v[14:15], v[2:3]
	v_mov_b64_e32 v[10:11], v[2:3]
	;; [unrolled: 1-line block ×3, first 2 shown]
	s_branch .LBB0_14
.LBB0_12:                               ;   in Loop: Header=BB0_14 Depth=1
	s_or_b64 exec, exec, s[0:1]
.LBB0_13:                               ;   in Loop: Header=BB0_14 Depth=1
	s_or_b64 exec, exec, s[22:23]
	ds_read2_b64 v[16:19], v43 offset0:8 offset1:12
	v_add_u32_e32 v20, 0x800, v43
	ds_read2_b64 v[20:23], v20 offset0:24 offset1:28
	s_add_i32 s31, s31, 64
	s_add_i32 s28, s28, 1
	s_waitcnt vmcnt(0) lgkmcnt(1)
	v_mfma_f32_16x16x16_bf16 v[12:15], v[34:35], v[16:17], v[12:15]
	v_add_u32_e32 v16, 0x1000, v43
	v_lshl_add_u64 v[26:27], v[26:27], 0, s[14:15]
	v_lshl_add_u64 v[28:29], v[28:29], 0, s[20:21]
	s_waitcnt lgkmcnt(0)
	v_mfma_f32_16x16x16_bf16 v[44:47], v[34:35], v[20:21], v[4:7]
	s_cmp_eq_u32 s30, s31
	s_nop 1
	ds_read2_b64 v[4:7], v16 offset0:40 offset1:44
	v_add_u32_e32 v16, 0x1800, v43
	ds_read2_b64 v[52:55], v16 offset0:56 offset1:60
	s_waitcnt lgkmcnt(1)
	v_mfma_f32_16x16x16_bf16 v[48:51], v[34:35], v[4:5], v[0:3]
	s_waitcnt lgkmcnt(0)
	s_barrier
	v_mfma_f32_16x16x16_bf16 v[34:37], v[34:35], v[52:53], v[8:11]
	v_mfma_f32_16x16x16_bf16 v[2:5], v[32:33], v[18:19], v[12:15]
	;; [unrolled: 1-line block ×5, first 2 shown]
	s_cbranch_scc1 .LBB0_66
.LBB0_14:                               ; =>This Inner Loop Header: Depth=1
	s_add_i32 s0, s28, -1
	s_and_b32 s35, s0, 1
	s_cmp_ge_i32 s28, s29
	s_cbranch_scc1 .LBB0_18
; %bb.15:                               ;   in Loop: Header=BB0_14 Depth=1
	v_add_u32_e32 v0, s31, v41
	v_cmp_gt_i32_e64 s[0:1], s18, v0
	s_and_b64 s[22:23], s[6:7], s[0:1]
	v_mov_b32_e32 v0, 0
	v_mov_b32_e32 v1, 0
	s_and_saveexec_b64 s[0:1], s[22:23]
	s_cbranch_execz .LBB0_17
; %bb.16:                               ;   in Loop: Header=BB0_14 Depth=1
	global_load_dwordx4 v[18:21], v[26:27], off
	s_waitcnt vmcnt(0)
	v_cvt_pk_bf16_f32 v0, v18, s0
	v_cvt_pk_bf16_f32 v1, v19, v20
	;; [unrolled: 1-line block ×3, first 2 shown]
	v_perm_b32 v0, v1, v0, s33
	v_alignbit_b32 v1, v18, v1, 16
.LBB0_17:                               ;   in Loop: Header=BB0_14 Depth=1
	s_or_b64 exec, exec, s[0:1]
	s_xor_b32 s0, s35, 1
	s_mulk_i32 s0, 0x2200
	v_add_u32_e32 v18, s0, v39
	ds_write_b64 v18, v[0:1]
.LBB0_18:                               ;   in Loop: Header=BB0_14 Depth=1
	v_add_u32_e32 v42, s31, v38
	v_mov_b32_e32 v30, 0
	v_mov_b32_e32 v36, 0
	;; [unrolled: 1-line block ×3, first 2 shown]
	s_and_saveexec_b64 s[22:23], s[8:9]
	s_cbranch_execz .LBB0_30
; %bb.19:                               ;   in Loop: Header=BB0_14 Depth=1
	v_add_u32_e32 v0, 3, v42
	v_cmp_le_i32_e64 s[0:1], s18, v0
                                        ; implicit-def: $vgpr37
	s_and_saveexec_b64 s[24:25], s[0:1]
	s_xor_b64 s[24:25], exec, s[24:25]
	s_cbranch_execz .LBB0_27
; %bb.20:                               ;   in Loop: Header=BB0_14 Depth=1
	v_cmp_gt_i32_e64 s[0:1], s18, v42
	v_mov_b32_e32 v37, 0
	v_mov_b32_e32 v36, 0
	s_and_saveexec_b64 s[26:27], s[0:1]
	s_cbranch_execz .LBB0_22
; %bb.21:                               ;   in Loop: Header=BB0_14 Depth=1
	global_load_ushort v0, v[28:29], off offset:-100
	s_waitcnt vmcnt(0)
	v_and_b32_e32 v36, 0xffff, v0
.LBB0_22:                               ;   in Loop: Header=BB0_14 Depth=1
	s_or_b64 exec, exec, s[26:27]
	v_add_u32_e32 v0, 1, v42
	v_cmp_gt_i32_e64 s[0:1], s18, v0
	s_and_saveexec_b64 s[26:27], s[0:1]
	s_cbranch_execz .LBB0_24
; %bb.23:                               ;   in Loop: Header=BB0_14 Depth=1
	global_load_ushort v0, v[28:29], off offset:-98
	s_waitcnt vmcnt(0)
	v_perm_b32 v36, v0, v36, s33
.LBB0_24:                               ;   in Loop: Header=BB0_14 Depth=1
	s_or_b64 exec, exec, s[26:27]
	v_add_u32_e32 v0, 2, v42
	v_cmp_gt_i32_e64 s[0:1], s18, v0
	s_and_saveexec_b64 s[26:27], s[0:1]
	s_cbranch_execz .LBB0_26
; %bb.25:                               ;   in Loop: Header=BB0_14 Depth=1
	global_load_ushort v0, v[28:29], off offset:-96
	s_waitcnt vmcnt(0)
	v_bfi_b32 v37, s34, v0, v37
.LBB0_26:                               ;   in Loop: Header=BB0_14 Depth=1
	s_or_b64 exec, exec, s[26:27]
.LBB0_27:                               ;   in Loop: Header=BB0_14 Depth=1
	s_andn2_saveexec_b64 s[0:1], s[24:25]
	s_cbranch_execz .LBB0_29
; %bb.28:                               ;   in Loop: Header=BB0_14 Depth=1
	global_load_dwordx2 v[36:37], v[28:29], off offset:-100
.LBB0_29:                               ;   in Loop: Header=BB0_14 Depth=1
	s_or_b64 exec, exec, s[0:1]
.LBB0_30:                               ;   in Loop: Header=BB0_14 Depth=1
	s_or_b64 exec, exec, s[22:23]
	v_mov_b32_e32 v31, 0
	s_and_saveexec_b64 s[22:23], s[8:9]
	s_cbranch_execz .LBB0_42
; %bb.31:                               ;   in Loop: Header=BB0_14 Depth=1
	v_add_u32_e32 v0, 19, v42
	v_cmp_le_i32_e64 s[0:1], s18, v0
                                        ; implicit-def: $vgpr31
	s_and_saveexec_b64 s[24:25], s[0:1]
	s_xor_b64 s[24:25], exec, s[24:25]
	s_cbranch_execz .LBB0_39
; %bb.32:                               ;   in Loop: Header=BB0_14 Depth=1
	v_add_u32_e32 v0, 16, v42
	v_cmp_gt_i32_e64 s[0:1], s18, v0
	v_mov_b32_e32 v31, 0
	v_mov_b32_e32 v30, 0
	s_and_saveexec_b64 s[26:27], s[0:1]
	s_cbranch_execz .LBB0_34
; %bb.33:                               ;   in Loop: Header=BB0_14 Depth=1
	global_load_ushort v0, v[28:29], off offset:-68
	s_waitcnt vmcnt(0)
	v_and_b32_e32 v30, 0xffff, v0
.LBB0_34:                               ;   in Loop: Header=BB0_14 Depth=1
	s_or_b64 exec, exec, s[26:27]
	v_add_u32_e32 v0, 17, v42
	v_cmp_gt_i32_e64 s[0:1], s18, v0
	s_and_saveexec_b64 s[26:27], s[0:1]
	s_cbranch_execz .LBB0_36
; %bb.35:                               ;   in Loop: Header=BB0_14 Depth=1
	global_load_ushort v0, v[28:29], off offset:-66
	s_waitcnt vmcnt(0)
	v_perm_b32 v30, v0, v30, s33
.LBB0_36:                               ;   in Loop: Header=BB0_14 Depth=1
	s_or_b64 exec, exec, s[26:27]
	v_add_u32_e32 v0, 18, v42
	v_cmp_gt_i32_e64 s[0:1], s18, v0
	s_and_saveexec_b64 s[26:27], s[0:1]
	s_cbranch_execz .LBB0_38
; %bb.37:                               ;   in Loop: Header=BB0_14 Depth=1
	global_load_ushort v0, v[28:29], off offset:-64
	s_waitcnt vmcnt(0)
	v_bfi_b32 v31, s34, v0, v31
.LBB0_38:                               ;   in Loop: Header=BB0_14 Depth=1
	s_or_b64 exec, exec, s[26:27]
.LBB0_39:                               ;   in Loop: Header=BB0_14 Depth=1
	s_andn2_saveexec_b64 s[0:1], s[24:25]
	s_cbranch_execz .LBB0_41
; %bb.40:                               ;   in Loop: Header=BB0_14 Depth=1
	global_load_dwordx2 v[30:31], v[28:29], off offset:-68
.LBB0_41:                               ;   in Loop: Header=BB0_14 Depth=1
	s_or_b64 exec, exec, s[0:1]
.LBB0_42:                               ;   in Loop: Header=BB0_14 Depth=1
	s_or_b64 exec, exec, s[22:23]
	s_mulk_i32 s35, 0x2200
	v_add_u32_e32 v43, s35, v40
	ds_read_b64 v[0:1], v43
	ds_read_b64 v[18:19], v43 offset:2176
	ds_read_b64 v[20:21], v43 offset:4352
	;; [unrolled: 1-line block ×3, first 2 shown]
	v_mov_b32_e32 v32, 0
	s_waitcnt vmcnt(0) lgkmcnt(3)
	v_mfma_f32_16x16x16_bf16 v[0:3], v[36:37], v[0:1], v[2:5]
	v_mov_b32_e32 v34, 0
	v_mov_b32_e32 v35, 0
	s_waitcnt lgkmcnt(2)
	v_mfma_f32_16x16x16_bf16 v[16:19], v[36:37], v[18:19], v[14:17]
	s_waitcnt lgkmcnt(1)
	v_mfma_f32_16x16x16_bf16 v[20:23], v[36:37], v[20:21], v[10:13]
	;; [unrolled: 2-line block ×3, first 2 shown]
	s_and_saveexec_b64 s[22:23], s[8:9]
	s_cbranch_execz .LBB0_54
; %bb.43:                               ;   in Loop: Header=BB0_14 Depth=1
	v_add_u32_e32 v4, 35, v42
	v_cmp_le_i32_e64 s[0:1], s18, v4
                                        ; implicit-def: $vgpr35
	s_and_saveexec_b64 s[24:25], s[0:1]
	s_xor_b64 s[24:25], exec, s[24:25]
	s_cbranch_execz .LBB0_51
; %bb.44:                               ;   in Loop: Header=BB0_14 Depth=1
	v_add_u32_e32 v4, 32, v42
	v_cmp_gt_i32_e64 s[0:1], s18, v4
	v_mov_b32_e32 v35, 0
	v_mov_b32_e32 v34, 0
	s_and_saveexec_b64 s[26:27], s[0:1]
	s_cbranch_execz .LBB0_46
; %bb.45:                               ;   in Loop: Header=BB0_14 Depth=1
	global_load_ushort v4, v[28:29], off offset:-36
	s_waitcnt vmcnt(0)
	v_and_b32_e32 v34, 0xffff, v4
.LBB0_46:                               ;   in Loop: Header=BB0_14 Depth=1
	s_or_b64 exec, exec, s[26:27]
	v_add_u32_e32 v4, 33, v42
	v_cmp_gt_i32_e64 s[0:1], s18, v4
	s_and_saveexec_b64 s[26:27], s[0:1]
	s_cbranch_execz .LBB0_48
; %bb.47:                               ;   in Loop: Header=BB0_14 Depth=1
	global_load_ushort v4, v[28:29], off offset:-34
	s_waitcnt vmcnt(0)
	v_perm_b32 v34, v4, v34, s33
.LBB0_48:                               ;   in Loop: Header=BB0_14 Depth=1
	s_or_b64 exec, exec, s[26:27]
	v_add_u32_e32 v4, 34, v42
	v_cmp_gt_i32_e64 s[0:1], s18, v4
	s_and_saveexec_b64 s[26:27], s[0:1]
	s_cbranch_execz .LBB0_50
; %bb.49:                               ;   in Loop: Header=BB0_14 Depth=1
	global_load_ushort v4, v[28:29], off offset:-32
	s_waitcnt vmcnt(0)
	v_bfi_b32 v35, s34, v4, v35
.LBB0_50:                               ;   in Loop: Header=BB0_14 Depth=1
	s_or_b64 exec, exec, s[26:27]
.LBB0_51:                               ;   in Loop: Header=BB0_14 Depth=1
	s_andn2_saveexec_b64 s[0:1], s[24:25]
	s_cbranch_execz .LBB0_53
; %bb.52:                               ;   in Loop: Header=BB0_14 Depth=1
	global_load_dwordx2 v[34:35], v[28:29], off offset:-36
.LBB0_53:                               ;   in Loop: Header=BB0_14 Depth=1
	s_or_b64 exec, exec, s[0:1]
.LBB0_54:                               ;   in Loop: Header=BB0_14 Depth=1
	s_or_b64 exec, exec, s[22:23]
	ds_read_b64 v[4:5], v43 offset:32
	ds_read_b64 v[6:7], v43 offset:2208
	;; [unrolled: 1-line block ×4, first 2 shown]
	v_mov_b32_e32 v33, 0
	s_waitcnt lgkmcnt(3)
	v_mfma_f32_16x16x16_bf16 v[12:15], v[30:31], v[4:5], v[0:3]
	s_waitcnt lgkmcnt(2)
	v_mfma_f32_16x16x16_bf16 v[4:7], v[30:31], v[6:7], v[16:19]
	;; [unrolled: 2-line block ×4, first 2 shown]
	s_and_saveexec_b64 s[22:23], s[8:9]
	s_cbranch_execz .LBB0_13
; %bb.55:                               ;   in Loop: Header=BB0_14 Depth=1
	v_add_u32_e32 v16, 51, v42
	v_cmp_le_i32_e64 s[0:1], s18, v16
                                        ; implicit-def: $vgpr33
	s_and_saveexec_b64 s[24:25], s[0:1]
	s_xor_b64 s[24:25], exec, s[24:25]
	s_cbranch_execz .LBB0_63
; %bb.56:                               ;   in Loop: Header=BB0_14 Depth=1
	v_add_u32_e32 v16, 48, v42
	v_cmp_gt_i32_e64 s[0:1], s18, v16
	v_mov_b32_e32 v33, 0
	v_mov_b32_e32 v32, 0
	s_and_saveexec_b64 s[26:27], s[0:1]
	s_cbranch_execz .LBB0_58
; %bb.57:                               ;   in Loop: Header=BB0_14 Depth=1
	global_load_ushort v16, v[28:29], off offset:-4
	s_waitcnt vmcnt(0)
	v_and_b32_e32 v32, 0xffff, v16
.LBB0_58:                               ;   in Loop: Header=BB0_14 Depth=1
	s_or_b64 exec, exec, s[26:27]
	v_add_u32_e32 v16, 49, v42
	v_cmp_gt_i32_e64 s[0:1], s18, v16
	s_and_saveexec_b64 s[26:27], s[0:1]
	s_cbranch_execz .LBB0_60
; %bb.59:                               ;   in Loop: Header=BB0_14 Depth=1
	global_load_ushort v16, v[28:29], off offset:-2
	s_waitcnt vmcnt(0)
	v_perm_b32 v32, v16, v32, s33
.LBB0_60:                               ;   in Loop: Header=BB0_14 Depth=1
	s_or_b64 exec, exec, s[26:27]
	v_add_u32_e32 v16, 50, v42
	v_cmp_gt_i32_e64 s[0:1], s18, v16
	s_and_saveexec_b64 s[26:27], s[0:1]
	s_cbranch_execz .LBB0_62
; %bb.61:                               ;   in Loop: Header=BB0_14 Depth=1
	global_load_ushort v16, v[28:29], off
	s_waitcnt vmcnt(0)
	v_bfi_b32 v33, s34, v16, v33
.LBB0_62:                               ;   in Loop: Header=BB0_14 Depth=1
	s_or_b64 exec, exec, s[26:27]
.LBB0_63:                               ;   in Loop: Header=BB0_14 Depth=1
	s_andn2_saveexec_b64 s[0:1], s[24:25]
	s_cbranch_execz .LBB0_12
; %bb.64:                               ;   in Loop: Header=BB0_14 Depth=1
	global_load_dwordx2 v[32:33], v[28:29], off offset:-4
	s_branch .LBB0_12
.LBB0_65:
	v_mov_b64_e32 v[16:17], v[4:5]
	v_mov_b64_e32 v[12:13], v[4:5]
	;; [unrolled: 1-line block ×6, first 2 shown]
.LBB0_66:
	v_or_b32_e32 v19, s19, v25
	v_or_b32_e32 v18, 16, v19
	;; [unrolled: 1-line block ×4, first 2 shown]
	v_cmp_gt_i32_e64 s[6:7], s17, v19
	s_and_saveexec_b64 s[0:1], s[4:5]
	s_xor_b64 s[14:15], exec, s[0:1]
	s_cbranch_execz .LBB0_86
; %bb.67:
	v_mad_i64_i32 v[20:21], s[0:1], s16, v19, 0
	v_cmp_gt_i32_e64 s[8:9], s17, v18
	v_mad_i64_i32 v[18:19], s[0:1], s16, v18, 0
	v_lshl_add_u64 v[22:23], v[20:21], 2, s[2:3]
	v_lshl_add_u64 v[20:21], v[18:19], 2, s[2:3]
	v_mad_i64_i32 v[18:19], s[4:5], s16, v1, 0
	v_cmp_gt_i32_e64 s[0:1], s17, v1
	v_cmp_gt_i32_e64 s[4:5], s17, v0
	v_mad_i64_i32 v[0:1], s[18:19], s16, v0, 0
	v_lshl_add_u64 v[18:19], v[18:19], 2, s[2:3]
	v_lshl_add_u64 v[0:1], v[0:1], 2, s[2:3]
	s_and_saveexec_b64 s[18:19], s[12:13]
	s_cbranch_execz .LBB0_73
; %bb.68:
	s_and_saveexec_b64 s[12:13], s[6:7]
	s_cbranch_execnz .LBB0_96
; %bb.69:
	s_or_b64 exec, exec, s[12:13]
	s_and_saveexec_b64 s[12:13], s[8:9]
	s_cbranch_execnz .LBB0_97
.LBB0_70:
	s_or_b64 exec, exec, s[12:13]
	s_and_saveexec_b64 s[12:13], s[0:1]
	s_cbranch_execnz .LBB0_98
.LBB0_71:
	s_or_b64 exec, exec, s[12:13]
	s_and_b64 exec, exec, s[4:5]
	s_cbranch_execz .LBB0_73
.LBB0_72:
	v_ashrrev_i32_e32 v25, 31, v24
	v_lshl_add_u64 v[26:27], v[24:25], 2, v[0:1]
	global_store_dword v[26:27], v6, off nt
.LBB0_73:
	s_or_b64 exec, exec, s[18:19]
	s_and_saveexec_b64 s[12:13], s[10:11]
	s_cbranch_execz .LBB0_79
; %bb.74:
	s_and_saveexec_b64 s[10:11], s[6:7]
	s_cbranch_execnz .LBB0_99
; %bb.75:
	s_or_b64 exec, exec, s[10:11]
	s_and_saveexec_b64 s[10:11], s[8:9]
	s_cbranch_execnz .LBB0_100
.LBB0_76:
	s_or_b64 exec, exec, s[10:11]
	s_and_saveexec_b64 s[10:11], s[0:1]
	s_cbranch_execnz .LBB0_101
.LBB0_77:
	s_or_b64 exec, exec, s[10:11]
	s_and_b64 exec, exec, s[4:5]
	s_cbranch_execz .LBB0_79
.LBB0_78:
	v_ashrrev_i32_e32 v25, 31, v24
	v_lshl_add_u64 v[2:3], v[24:25], 2, v[0:1]
	global_store_dword v[2:3], v7, off offset:4 nt
.LBB0_79:
	s_or_b64 exec, exec, s[12:13]
	s_and_saveexec_b64 s[10:11], vcc
	s_cbranch_execz .LBB0_85
; %bb.80:
	s_and_saveexec_b64 s[12:13], s[6:7]
	s_cbranch_execnz .LBB0_102
; %bb.81:
	s_or_b64 exec, exec, s[12:13]
	s_and_saveexec_b64 s[12:13], s[8:9]
	s_cbranch_execnz .LBB0_103
.LBB0_82:
	s_or_b64 exec, exec, s[12:13]
	s_and_saveexec_b64 s[8:9], s[0:1]
	s_cbranch_execnz .LBB0_104
.LBB0_83:
	s_or_b64 exec, exec, s[8:9]
	s_and_b64 exec, exec, s[4:5]
	s_cbranch_execz .LBB0_85
.LBB0_84:
	v_ashrrev_i32_e32 v25, 31, v24
	v_lshl_add_u64 v[0:1], v[24:25], 2, v[0:1]
	global_store_dword v[0:1], v8, off offset:8 nt
.LBB0_85:
	s_or_b64 exec, exec, s[10:11]
                                        ; implicit-def: $vgpr24
                                        ; implicit-def: $vgpr19
                                        ; implicit-def: $vgpr18
                                        ; implicit-def: $vgpr1
                                        ; implicit-def: $vgpr0
                                        ; implicit-def: $vgpr2_vgpr3_vgpr4_vgpr5
                                        ; implicit-def: $vgpr14_vgpr15_vgpr16_vgpr17
                                        ; implicit-def: $vgpr10_vgpr11_vgpr12_vgpr13
                                        ; implicit-def: $vgpr6_vgpr7_vgpr8_vgpr9
.LBB0_86:
	s_andn2_saveexec_b64 s[0:1], s[14:15]
	s_cbranch_execz .LBB0_92
; %bb.87:
	s_and_saveexec_b64 s[0:1], s[6:7]
	s_cbranch_execnz .LBB0_93
; %bb.88:
	s_or_b64 exec, exec, s[0:1]
	v_cmp_gt_i32_e32 vcc, s17, v18
	s_and_saveexec_b64 s[0:1], vcc
	s_cbranch_execnz .LBB0_94
.LBB0_89:
	s_or_b64 exec, exec, s[0:1]
	v_cmp_gt_i32_e32 vcc, s17, v1
	s_and_saveexec_b64 s[0:1], vcc
	s_cbranch_execnz .LBB0_95
.LBB0_90:
	s_or_b64 exec, exec, s[0:1]
	v_cmp_gt_i32_e32 vcc, s17, v0
	s_and_saveexec_b64 s[0:1], vcc
	s_cbranch_execz .LBB0_92
.LBB0_91:
	v_mad_i64_i32 v[0:1], s[0:1], s16, v0, 0
	v_ashrrev_i32_e32 v25, 31, v24
	v_lshl_add_u64 v[0:1], v[0:1], 2, s[2:3]
	v_lshl_add_u64 v[0:1], v[24:25], 2, v[0:1]
	global_store_dwordx4 v[0:1], v[6:9], off
.LBB0_92:
	s_endpgm
.LBB0_93:
	v_mad_i64_i32 v[20:21], s[4:5], s16, v19, 0
	v_ashrrev_i32_e32 v25, 31, v24
	v_lshl_add_u64 v[20:21], v[20:21], 2, s[2:3]
	v_lshl_add_u64 v[20:21], v[24:25], 2, v[20:21]
	global_store_dwordx4 v[20:21], v[2:5], off
	s_or_b64 exec, exec, s[0:1]
	v_cmp_gt_i32_e32 vcc, s17, v18
	s_and_saveexec_b64 s[0:1], vcc
	s_cbranch_execz .LBB0_89
.LBB0_94:
	v_mad_i64_i32 v[2:3], s[4:5], s16, v18, 0
	v_ashrrev_i32_e32 v25, 31, v24
	v_lshl_add_u64 v[2:3], v[2:3], 2, s[2:3]
	v_lshl_add_u64 v[2:3], v[24:25], 2, v[2:3]
	global_store_dwordx4 v[2:3], v[14:17], off
	s_or_b64 exec, exec, s[0:1]
	v_cmp_gt_i32_e32 vcc, s17, v1
	s_and_saveexec_b64 s[0:1], vcc
	s_cbranch_execz .LBB0_90
.LBB0_95:
	v_mad_i64_i32 v[2:3], s[4:5], s16, v1, 0
	v_ashrrev_i32_e32 v25, 31, v24
	v_lshl_add_u64 v[2:3], v[2:3], 2, s[2:3]
	v_lshl_add_u64 v[2:3], v[24:25], 2, v[2:3]
	global_store_dwordx4 v[2:3], v[10:13], off
	s_or_b64 exec, exec, s[0:1]
	v_cmp_gt_i32_e32 vcc, s17, v0
	s_and_saveexec_b64 s[0:1], vcc
	s_cbranch_execnz .LBB0_91
	s_branch .LBB0_92
.LBB0_96:
	v_ashrrev_i32_e32 v25, 31, v24
	v_lshl_add_u64 v[26:27], v[24:25], 2, v[22:23]
	global_store_dword v[26:27], v2, off nt
	s_or_b64 exec, exec, s[12:13]
	s_and_saveexec_b64 s[12:13], s[8:9]
	s_cbranch_execz .LBB0_70
.LBB0_97:
	v_ashrrev_i32_e32 v25, 31, v24
	v_lshl_add_u64 v[26:27], v[24:25], 2, v[20:21]
	global_store_dword v[26:27], v14, off nt
	s_or_b64 exec, exec, s[12:13]
	s_and_saveexec_b64 s[12:13], s[0:1]
	s_cbranch_execz .LBB0_71
.LBB0_98:
	v_ashrrev_i32_e32 v25, 31, v24
	v_lshl_add_u64 v[26:27], v[24:25], 2, v[18:19]
	global_store_dword v[26:27], v10, off nt
	s_or_b64 exec, exec, s[12:13]
	s_and_b64 exec, exec, s[4:5]
	s_cbranch_execnz .LBB0_72
	s_branch .LBB0_73
.LBB0_99:
	v_ashrrev_i32_e32 v25, 31, v24
	v_lshl_add_u64 v[26:27], v[24:25], 2, v[22:23]
	global_store_dword v[26:27], v3, off offset:4 nt
	s_or_b64 exec, exec, s[10:11]
	s_and_saveexec_b64 s[10:11], s[8:9]
	s_cbranch_execz .LBB0_76
.LBB0_100:
	v_ashrrev_i32_e32 v25, 31, v24
	v_lshl_add_u64 v[2:3], v[24:25], 2, v[20:21]
	global_store_dword v[2:3], v15, off offset:4 nt
	s_or_b64 exec, exec, s[10:11]
	s_and_saveexec_b64 s[10:11], s[0:1]
	s_cbranch_execz .LBB0_77
.LBB0_101:
	v_ashrrev_i32_e32 v25, 31, v24
	v_lshl_add_u64 v[2:3], v[24:25], 2, v[18:19]
	global_store_dword v[2:3], v11, off offset:4 nt
	s_or_b64 exec, exec, s[10:11]
	s_and_b64 exec, exec, s[4:5]
	s_cbranch_execnz .LBB0_78
	s_branch .LBB0_79
.LBB0_102:
	v_ashrrev_i32_e32 v25, 31, v24
	v_lshl_add_u64 v[2:3], v[24:25], 2, v[22:23]
	global_store_dword v[2:3], v4, off offset:8 nt
	s_or_b64 exec, exec, s[12:13]
	s_and_saveexec_b64 s[12:13], s[8:9]
	s_cbranch_execz .LBB0_82
.LBB0_103:
	v_ashrrev_i32_e32 v25, 31, v24
	v_lshl_add_u64 v[2:3], v[24:25], 2, v[20:21]
	global_store_dword v[2:3], v16, off offset:8 nt
	s_or_b64 exec, exec, s[12:13]
	s_and_saveexec_b64 s[8:9], s[0:1]
	s_cbranch_execz .LBB0_83
.LBB0_104:
	v_ashrrev_i32_e32 v25, 31, v24
	v_lshl_add_u64 v[2:3], v[24:25], 2, v[18:19]
	global_store_dword v[2:3], v12, off offset:8 nt
	s_or_b64 exec, exec, s[8:9]
	s_and_b64 exec, exec, s[4:5]
	s_cbranch_execnz .LBB0_84
	s_branch .LBB0_85
	.section	.rodata,"a",@progbits
	.p2align	6, 0x0
	.amdhsa_kernel _Z25gemm_bf16_f32_mfma_routerPK14__hip_bfloat16PKfPfS1_iii
		.amdhsa_group_segment_fixed_size 17408
		.amdhsa_private_segment_fixed_size 0
		.amdhsa_kernarg_size 44
		.amdhsa_user_sgpr_count 2
		.amdhsa_user_sgpr_dispatch_ptr 0
		.amdhsa_user_sgpr_queue_ptr 0
		.amdhsa_user_sgpr_kernarg_segment_ptr 1
		.amdhsa_user_sgpr_dispatch_id 0
		.amdhsa_user_sgpr_kernarg_preload_length 0
		.amdhsa_user_sgpr_kernarg_preload_offset 0
		.amdhsa_user_sgpr_private_segment_size 0
		.amdhsa_uses_dynamic_stack 0
		.amdhsa_enable_private_segment 0
		.amdhsa_system_sgpr_workgroup_id_x 1
		.amdhsa_system_sgpr_workgroup_id_y 1
		.amdhsa_system_sgpr_workgroup_id_z 0
		.amdhsa_system_sgpr_workgroup_info 0
		.amdhsa_system_vgpr_workitem_id 0
		.amdhsa_next_free_vgpr 56
		.amdhsa_next_free_sgpr 36
		.amdhsa_accum_offset 56
		.amdhsa_reserve_vcc 1
		.amdhsa_float_round_mode_32 0
		.amdhsa_float_round_mode_16_64 0
		.amdhsa_float_denorm_mode_32 3
		.amdhsa_float_denorm_mode_16_64 3
		.amdhsa_dx10_clamp 1
		.amdhsa_ieee_mode 1
		.amdhsa_fp16_overflow 0
		.amdhsa_tg_split 0
		.amdhsa_exception_fp_ieee_invalid_op 0
		.amdhsa_exception_fp_denorm_src 0
		.amdhsa_exception_fp_ieee_div_zero 0
		.amdhsa_exception_fp_ieee_overflow 0
		.amdhsa_exception_fp_ieee_underflow 0
		.amdhsa_exception_fp_ieee_inexact 0
		.amdhsa_exception_int_div_zero 0
	.end_amdhsa_kernel
	.text
.Lfunc_end0:
	.size	_Z25gemm_bf16_f32_mfma_routerPK14__hip_bfloat16PKfPfS1_iii, .Lfunc_end0-_Z25gemm_bf16_f32_mfma_routerPK14__hip_bfloat16PKfPfS1_iii
                                        ; -- End function
	.set _Z25gemm_bf16_f32_mfma_routerPK14__hip_bfloat16PKfPfS1_iii.num_vgpr, 56
	.set _Z25gemm_bf16_f32_mfma_routerPK14__hip_bfloat16PKfPfS1_iii.num_agpr, 0
	.set _Z25gemm_bf16_f32_mfma_routerPK14__hip_bfloat16PKfPfS1_iii.numbered_sgpr, 36
	.set _Z25gemm_bf16_f32_mfma_routerPK14__hip_bfloat16PKfPfS1_iii.num_named_barrier, 0
	.set _Z25gemm_bf16_f32_mfma_routerPK14__hip_bfloat16PKfPfS1_iii.private_seg_size, 0
	.set _Z25gemm_bf16_f32_mfma_routerPK14__hip_bfloat16PKfPfS1_iii.uses_vcc, 1
	.set _Z25gemm_bf16_f32_mfma_routerPK14__hip_bfloat16PKfPfS1_iii.uses_flat_scratch, 0
	.set _Z25gemm_bf16_f32_mfma_routerPK14__hip_bfloat16PKfPfS1_iii.has_dyn_sized_stack, 0
	.set _Z25gemm_bf16_f32_mfma_routerPK14__hip_bfloat16PKfPfS1_iii.has_recursion, 0
	.set _Z25gemm_bf16_f32_mfma_routerPK14__hip_bfloat16PKfPfS1_iii.has_indirect_call, 0
	.section	.AMDGPU.csdata,"",@progbits
; Kernel info:
; codeLenInByte = 3028
; TotalNumSgprs: 42
; NumVgprs: 56
; NumAgprs: 0
; TotalNumVgprs: 56
; ScratchSize: 0
; MemoryBound: 0
; FloatMode: 240
; IeeeMode: 1
; LDSByteSize: 17408 bytes/workgroup (compile time only)
; SGPRBlocks: 5
; VGPRBlocks: 6
; NumSGPRsForWavesPerEU: 42
; NumVGPRsForWavesPerEU: 56
; AccumOffset: 56
; Occupancy: 8
; WaveLimiterHint : 0
; COMPUTE_PGM_RSRC2:SCRATCH_EN: 0
; COMPUTE_PGM_RSRC2:USER_SGPR: 2
; COMPUTE_PGM_RSRC2:TRAP_HANDLER: 0
; COMPUTE_PGM_RSRC2:TGID_X_EN: 1
; COMPUTE_PGM_RSRC2:TGID_Y_EN: 1
; COMPUTE_PGM_RSRC2:TGID_Z_EN: 0
; COMPUTE_PGM_RSRC2:TIDIG_COMP_CNT: 0
; COMPUTE_PGM_RSRC3_GFX90A:ACCUM_OFFSET: 13
; COMPUTE_PGM_RSRC3_GFX90A:TG_SPLIT: 0
	.text
	.p2alignl 6, 3212836864
	.fill 256, 4, 3212836864
	.section	.AMDGPU.gpr_maximums,"",@progbits
	.set amdgpu.max_num_vgpr, 0
	.set amdgpu.max_num_agpr, 0
	.set amdgpu.max_num_sgpr, 0
	.text
	.type	__hip_cuid_6619a4f9fbc47441,@object ; @__hip_cuid_6619a4f9fbc47441
	.section	.bss,"aw",@nobits
	.globl	__hip_cuid_6619a4f9fbc47441
__hip_cuid_6619a4f9fbc47441:
	.byte	0                               ; 0x0
	.size	__hip_cuid_6619a4f9fbc47441, 1

	.ident	"AMD clang version 22.0.0git (https://github.com/RadeonOpenCompute/llvm-project roc-7.2.4 26084 f58b06dce1f9c15707c5f808fd002e18c2accf7e)"
	.section	".note.GNU-stack","",@progbits
	.addrsig
	.addrsig_sym __hip_cuid_6619a4f9fbc47441
	.amdgpu_metadata
---
amdhsa.kernels:
  - .agpr_count:     0
    .args:
      - .actual_access:  read_only
        .address_space:  global
        .offset:         0
        .size:           8
        .value_kind:     global_buffer
      - .actual_access:  read_only
        .address_space:  global
        .offset:         8
        .size:           8
        .value_kind:     global_buffer
      - .actual_access:  write_only
        .address_space:  global
        .offset:         16
        .size:           8
        .value_kind:     global_buffer
      - .actual_access:  read_only
        .address_space:  global
        .offset:         24
        .size:           8
        .value_kind:     global_buffer
      - .offset:         32
        .size:           4
        .value_kind:     by_value
      - .offset:         36
        .size:           4
        .value_kind:     by_value
      - .offset:         40
        .size:           4
        .value_kind:     by_value
    .group_segment_fixed_size: 17408
    .kernarg_segment_align: 8
    .kernarg_segment_size: 44
    .language:       OpenCL C
    .language_version:
      - 2
      - 0
    .max_flat_workgroup_size: 1024
    .name:           _Z25gemm_bf16_f32_mfma_routerPK14__hip_bfloat16PKfPfS1_iii
    .private_segment_fixed_size: 0
    .sgpr_count:     42
    .sgpr_spill_count: 0
    .symbol:         _Z25gemm_bf16_f32_mfma_routerPK14__hip_bfloat16PKfPfS1_iii.kd
    .uniform_work_group_size: 1
    .uses_dynamic_stack: false
    .vgpr_count:     56
    .vgpr_spill_count: 0
    .wavefront_size: 64
amdhsa.target:   amdgcn-amd-amdhsa--gfx950
amdhsa.version:
  - 1
  - 2
...

	.end_amdgpu_metadata
